;; amdgpu-corpus repo=ROCm/rocFFT kind=compiled arch=gfx1030 opt=O3
	.text
	.amdgcn_target "amdgcn-amd-amdhsa--gfx1030"
	.amdhsa_code_object_version 6
	.protected	fft_rtc_fwd_len242_factors_11_2_11_wgs_110_tpt_22_sp_ip_CI_unitstride_sbrr_R2C_dirReg ; -- Begin function fft_rtc_fwd_len242_factors_11_2_11_wgs_110_tpt_22_sp_ip_CI_unitstride_sbrr_R2C_dirReg
	.globl	fft_rtc_fwd_len242_factors_11_2_11_wgs_110_tpt_22_sp_ip_CI_unitstride_sbrr_R2C_dirReg
	.p2align	8
	.type	fft_rtc_fwd_len242_factors_11_2_11_wgs_110_tpt_22_sp_ip_CI_unitstride_sbrr_R2C_dirReg,@function
fft_rtc_fwd_len242_factors_11_2_11_wgs_110_tpt_22_sp_ip_CI_unitstride_sbrr_R2C_dirReg: ; @fft_rtc_fwd_len242_factors_11_2_11_wgs_110_tpt_22_sp_ip_CI_unitstride_sbrr_R2C_dirReg
; %bb.0:
	s_load_dwordx4 s[8:11], s[4:5], 0x0
	v_mul_u32_u24_e32 v1, 0xba3, v0
	s_clause 0x1
	s_load_dwordx2 s[2:3], s[4:5], 0x50
	s_load_dwordx2 s[12:13], s[4:5], 0x18
	v_mov_b32_e32 v5, 0
	v_mov_b32_e32 v3, 0
	;; [unrolled: 1-line block ×3, first 2 shown]
	v_lshrrev_b32_e32 v1, 16, v1
	v_mad_u64_u32 v[1:2], null, s6, 5, v[1:2]
	v_mov_b32_e32 v2, v5
	v_mov_b32_e32 v10, v2
	;; [unrolled: 1-line block ×3, first 2 shown]
	s_waitcnt lgkmcnt(0)
	v_cmp_lt_u64_e64 s0, s[10:11], 2
	s_and_b32 vcc_lo, exec_lo, s0
	s_cbranch_vccnz .LBB0_8
; %bb.1:
	s_load_dwordx2 s[0:1], s[4:5], 0x10
	v_mov_b32_e32 v3, 0
	v_mov_b32_e32 v8, v2
	s_add_u32 s6, s12, 8
	v_mov_b32_e32 v4, 0
	v_mov_b32_e32 v7, v1
	s_addc_u32 s7, s13, 0
	s_mov_b64 s[16:17], 1
	s_waitcnt lgkmcnt(0)
	s_add_u32 s14, s0, 8
	s_addc_u32 s15, s1, 0
.LBB0_2:                                ; =>This Inner Loop Header: Depth=1
	s_load_dwordx2 s[18:19], s[14:15], 0x0
                                        ; implicit-def: $vgpr9_vgpr10
	s_mov_b32 s0, exec_lo
	s_waitcnt lgkmcnt(0)
	v_or_b32_e32 v6, s19, v8
	v_cmpx_ne_u64_e32 0, v[5:6]
	s_xor_b32 s1, exec_lo, s0
	s_cbranch_execz .LBB0_4
; %bb.3:                                ;   in Loop: Header=BB0_2 Depth=1
	v_cvt_f32_u32_e32 v2, s18
	v_cvt_f32_u32_e32 v6, s19
	s_sub_u32 s0, 0, s18
	s_subb_u32 s20, 0, s19
	v_fmac_f32_e32 v2, 0x4f800000, v6
	v_rcp_f32_e32 v2, v2
	v_mul_f32_e32 v2, 0x5f7ffffc, v2
	v_mul_f32_e32 v6, 0x2f800000, v2
	v_trunc_f32_e32 v6, v6
	v_fmac_f32_e32 v2, 0xcf800000, v6
	v_cvt_u32_f32_e32 v6, v6
	v_cvt_u32_f32_e32 v2, v2
	v_mul_lo_u32 v9, s0, v6
	v_mul_hi_u32 v10, s0, v2
	v_mul_lo_u32 v11, s20, v2
	v_add_nc_u32_e32 v9, v10, v9
	v_mul_lo_u32 v10, s0, v2
	v_add_nc_u32_e32 v9, v9, v11
	v_mul_hi_u32 v11, v2, v10
	v_mul_lo_u32 v12, v2, v9
	v_mul_hi_u32 v13, v2, v9
	v_mul_hi_u32 v14, v6, v10
	v_mul_lo_u32 v10, v6, v10
	v_mul_hi_u32 v15, v6, v9
	v_mul_lo_u32 v9, v6, v9
	v_add_co_u32 v11, vcc_lo, v11, v12
	v_add_co_ci_u32_e32 v12, vcc_lo, 0, v13, vcc_lo
	v_add_co_u32 v10, vcc_lo, v11, v10
	v_add_co_ci_u32_e32 v10, vcc_lo, v12, v14, vcc_lo
	v_add_co_ci_u32_e32 v11, vcc_lo, 0, v15, vcc_lo
	v_add_co_u32 v9, vcc_lo, v10, v9
	v_add_co_ci_u32_e32 v10, vcc_lo, 0, v11, vcc_lo
	v_add_co_u32 v2, vcc_lo, v2, v9
	v_add_co_ci_u32_e32 v6, vcc_lo, v6, v10, vcc_lo
	v_mul_hi_u32 v9, s0, v2
	v_mul_lo_u32 v11, s20, v2
	v_mul_lo_u32 v10, s0, v6
	v_add_nc_u32_e32 v9, v9, v10
	v_mul_lo_u32 v10, s0, v2
	v_add_nc_u32_e32 v9, v9, v11
	v_mul_hi_u32 v11, v2, v10
	v_mul_lo_u32 v12, v2, v9
	v_mul_hi_u32 v13, v2, v9
	v_mul_hi_u32 v14, v6, v10
	v_mul_lo_u32 v10, v6, v10
	v_mul_hi_u32 v15, v6, v9
	v_mul_lo_u32 v9, v6, v9
	v_add_co_u32 v11, vcc_lo, v11, v12
	v_add_co_ci_u32_e32 v12, vcc_lo, 0, v13, vcc_lo
	v_add_co_u32 v10, vcc_lo, v11, v10
	v_add_co_ci_u32_e32 v10, vcc_lo, v12, v14, vcc_lo
	v_add_co_ci_u32_e32 v11, vcc_lo, 0, v15, vcc_lo
	v_add_co_u32 v9, vcc_lo, v10, v9
	v_add_co_ci_u32_e32 v10, vcc_lo, 0, v11, vcc_lo
	v_add_co_u32 v2, vcc_lo, v2, v9
	v_add_co_ci_u32_e32 v6, vcc_lo, v6, v10, vcc_lo
	v_mul_hi_u32 v15, v7, v2
	v_mad_u64_u32 v[11:12], null, v8, v2, 0
	v_mad_u64_u32 v[9:10], null, v7, v6, 0
	v_mad_u64_u32 v[13:14], null, v8, v6, 0
	v_add_co_u32 v2, vcc_lo, v15, v9
	v_add_co_ci_u32_e32 v6, vcc_lo, 0, v10, vcc_lo
	v_add_co_u32 v2, vcc_lo, v2, v11
	v_add_co_ci_u32_e32 v2, vcc_lo, v6, v12, vcc_lo
	v_add_co_ci_u32_e32 v6, vcc_lo, 0, v14, vcc_lo
	v_add_co_u32 v2, vcc_lo, v2, v13
	v_add_co_ci_u32_e32 v6, vcc_lo, 0, v6, vcc_lo
	v_mul_lo_u32 v11, s19, v2
	v_mad_u64_u32 v[9:10], null, s18, v2, 0
	v_mul_lo_u32 v12, s18, v6
	v_sub_co_u32 v9, vcc_lo, v7, v9
	v_add3_u32 v10, v10, v12, v11
	v_sub_nc_u32_e32 v11, v8, v10
	v_subrev_co_ci_u32_e64 v11, s0, s19, v11, vcc_lo
	v_add_co_u32 v12, s0, v2, 2
	v_add_co_ci_u32_e64 v13, s0, 0, v6, s0
	v_sub_co_u32 v14, s0, v9, s18
	v_sub_co_ci_u32_e32 v10, vcc_lo, v8, v10, vcc_lo
	v_subrev_co_ci_u32_e64 v11, s0, 0, v11, s0
	v_cmp_le_u32_e32 vcc_lo, s18, v14
	v_cmp_eq_u32_e64 s0, s19, v10
	v_cndmask_b32_e64 v14, 0, -1, vcc_lo
	v_cmp_le_u32_e32 vcc_lo, s19, v11
	v_cndmask_b32_e64 v15, 0, -1, vcc_lo
	v_cmp_le_u32_e32 vcc_lo, s18, v9
	;; [unrolled: 2-line block ×3, first 2 shown]
	v_cndmask_b32_e64 v16, 0, -1, vcc_lo
	v_cmp_eq_u32_e32 vcc_lo, s19, v11
	v_cndmask_b32_e64 v9, v16, v9, s0
	v_cndmask_b32_e32 v11, v15, v14, vcc_lo
	v_add_co_u32 v14, vcc_lo, v2, 1
	v_add_co_ci_u32_e32 v15, vcc_lo, 0, v6, vcc_lo
	v_cmp_ne_u32_e32 vcc_lo, 0, v11
	v_cndmask_b32_e32 v10, v15, v13, vcc_lo
	v_cndmask_b32_e32 v11, v14, v12, vcc_lo
	v_cmp_ne_u32_e32 vcc_lo, 0, v9
	v_cndmask_b32_e32 v10, v6, v10, vcc_lo
	v_cndmask_b32_e32 v9, v2, v11, vcc_lo
.LBB0_4:                                ;   in Loop: Header=BB0_2 Depth=1
	s_andn2_saveexec_b32 s0, s1
	s_cbranch_execz .LBB0_6
; %bb.5:                                ;   in Loop: Header=BB0_2 Depth=1
	v_cvt_f32_u32_e32 v2, s18
	s_sub_i32 s1, 0, s18
	v_rcp_iflag_f32_e32 v2, v2
	v_mul_f32_e32 v2, 0x4f7ffffe, v2
	v_cvt_u32_f32_e32 v2, v2
	v_mul_lo_u32 v6, s1, v2
	v_mul_hi_u32 v6, v2, v6
	v_add_nc_u32_e32 v2, v2, v6
	v_mul_hi_u32 v2, v7, v2
	v_mul_lo_u32 v6, v2, s18
	v_add_nc_u32_e32 v9, 1, v2
	v_sub_nc_u32_e32 v6, v7, v6
	v_subrev_nc_u32_e32 v10, s18, v6
	v_cmp_le_u32_e32 vcc_lo, s18, v6
	v_cndmask_b32_e32 v6, v6, v10, vcc_lo
	v_cndmask_b32_e32 v2, v2, v9, vcc_lo
	v_mov_b32_e32 v10, v5
	v_cmp_le_u32_e32 vcc_lo, s18, v6
	v_add_nc_u32_e32 v9, 1, v2
	v_cndmask_b32_e32 v9, v2, v9, vcc_lo
.LBB0_6:                                ;   in Loop: Header=BB0_2 Depth=1
	s_or_b32 exec_lo, exec_lo, s0
	s_load_dwordx2 s[0:1], s[6:7], 0x0
	v_mul_lo_u32 v2, v10, s18
	v_mul_lo_u32 v6, v9, s19
	v_mad_u64_u32 v[11:12], null, v9, s18, 0
	s_add_u32 s16, s16, 1
	s_addc_u32 s17, s17, 0
	s_add_u32 s6, s6, 8
	s_addc_u32 s7, s7, 0
	;; [unrolled: 2-line block ×3, first 2 shown]
	v_add3_u32 v2, v12, v6, v2
	v_sub_co_u32 v6, vcc_lo, v7, v11
	v_sub_co_ci_u32_e32 v2, vcc_lo, v8, v2, vcc_lo
	s_waitcnt lgkmcnt(0)
	v_mul_lo_u32 v7, s1, v6
	v_mul_lo_u32 v2, s0, v2
	v_mad_u64_u32 v[3:4], null, s0, v6, v[3:4]
	v_cmp_ge_u64_e64 s0, s[16:17], s[10:11]
	s_and_b32 vcc_lo, exec_lo, s0
	v_add3_u32 v4, v7, v4, v2
	s_cbranch_vccnz .LBB0_8
; %bb.7:                                ;   in Loop: Header=BB0_2 Depth=1
	v_mov_b32_e32 v7, v9
	v_mov_b32_e32 v8, v10
	s_branch .LBB0_2
.LBB0_8:
	s_lshl_b64 s[0:1], s[10:11], 3
	v_mul_hi_u32 v2, 0xcccccccd, v1
	s_add_u32 s0, s12, s0
	s_addc_u32 s1, s13, s1
	v_mul_hi_u32 v5, 0xba2e8bb, v0
	s_load_dwordx2 s[0:1], s[0:1], 0x0
	s_load_dwordx2 s[4:5], s[4:5], 0x20
	v_lshrrev_b32_e32 v2, 2, v2
	v_mul_u32_u24_e32 v5, 22, v5
	v_lshl_add_u32 v6, v2, 2, v2
	v_sub_nc_u32_e32 v28, v0, v5
	v_sub_nc_u32_e32 v0, v1, v6
	v_add_nc_u32_e32 v33, 22, v28
	v_add_nc_u32_e32 v37, 44, v28
	;; [unrolled: 1-line block ×3, first 2 shown]
	s_waitcnt lgkmcnt(0)
	v_mul_lo_u32 v5, s0, v10
	v_mul_lo_u32 v7, s1, v9
	v_mad_u64_u32 v[2:3], null, s0, v9, v[3:4]
	v_cmp_gt_u64_e32 vcc_lo, s[4:5], v[9:10]
	v_cmp_le_u64_e64 s0, s[4:5], v[9:10]
	v_add_nc_u32_e32 v35, 0x58, v28
	v_add_nc_u32_e32 v32, 0x6e, v28
	v_add3_u32 v3, v7, v3, v5
	s_and_saveexec_b32 s1, s0
	s_xor_b32 s0, exec_lo, s1
; %bb.9:
	v_add_nc_u32_e32 v33, 22, v28
	v_add_nc_u32_e32 v37, 44, v28
	;; [unrolled: 1-line block ×5, first 2 shown]
; %bb.10:
	s_or_saveexec_b32 s1, s0
	v_mul_u32_u24_e32 v0, 0xf3, v0
	v_lshlrev_b64 v[30:31], 3, v[2:3]
	v_lshlrev_b32_e32 v34, 3, v28
	v_lshlrev_b32_e32 v24, 3, v0
	s_xor_b32 exec_lo, exec_lo, s1
	s_cbranch_execz .LBB0_12
; %bb.11:
	v_mov_b32_e32 v29, 0
	v_add_co_u32 v2, s0, s2, v30
	v_add_co_ci_u32_e64 v3, s0, s3, v31, s0
	v_lshlrev_b64 v[0:1], 3, v[28:29]
	v_add3_u32 v22, 0, v24, v34
	v_add_co_u32 v0, s0, v2, v0
	v_add_co_ci_u32_e64 v1, s0, v3, v1, s0
	s_clause 0xa
	global_load_dwordx2 v[2:3], v[0:1], off
	global_load_dwordx2 v[4:5], v[0:1], off offset:176
	global_load_dwordx2 v[6:7], v[0:1], off offset:352
	;; [unrolled: 1-line block ×10, first 2 shown]
	s_waitcnt vmcnt(9)
	ds_write2_b64 v22, v[2:3], v[4:5] offset1:22
	s_waitcnt vmcnt(7)
	ds_write2_b64 v22, v[6:7], v[8:9] offset0:44 offset1:66
	s_waitcnt vmcnt(5)
	ds_write2_b64 v22, v[10:11], v[12:13] offset0:88 offset1:110
	;; [unrolled: 2-line block ×4, first 2 shown]
	s_waitcnt vmcnt(0)
	ds_write_b64 v22, v[0:1] offset:1760
.LBB0_12:
	s_or_b32 exec_lo, exec_lo, s1
	v_add_nc_u32_e32 v53, 0, v24
	v_add3_u32 v29, 0, v34, v24
	s_waitcnt lgkmcnt(0)
	s_barrier
	buffer_gl0_inv
	v_add_nc_u32_e32 v52, v53, v34
	ds_read2_b64 v[0:3], v29 offset0:22 offset1:44
	ds_read2_b64 v[4:7], v29 offset0:198 offset1:220
	v_lshl_add_u32 v57, v33, 3, v53
	v_cmp_gt_u32_e64 s0, 11, v28
	ds_read_b64 v[20:21], v52
	ds_read2_b64 v[8:11], v29 offset0:66 offset1:88
	ds_read2_b64 v[12:15], v29 offset0:110 offset1:132
	;; [unrolled: 1-line block ×3, first 2 shown]
	s_waitcnt lgkmcnt(0)
	s_barrier
	buffer_gl0_inv
	v_add_f32_e32 v22, v6, v0
	v_add_f32_e32 v23, v7, v1
	v_sub_f32_e32 v25, v0, v6
	v_sub_f32_e32 v26, v1, v7
	v_add_f32_e32 v0, v20, v0
	v_add_f32_e32 v1, v21, v1
	v_sub_f32_e32 v40, v3, v5
	v_mul_f32_e32 v42, 0xbf0a6770, v25
	v_mul_f32_e32 v45, 0xbf7d64f0, v26
	v_add_f32_e32 v0, v0, v2
	v_add_f32_e32 v1, v1, v3
	v_mul_f32_e32 v47, 0xbf4178ce, v26
	v_mul_f32_e32 v41, 0xbf0a6770, v26
	v_mul_f32_e32 v43, 0xbf68dda4, v26
	v_add_f32_e32 v0, v0, v8
	v_add_f32_e32 v1, v1, v9
	v_mul_f32_e32 v44, 0xbf68dda4, v25
	;; [unrolled: 5-line block ×3, first 2 shown]
	v_fma_f32 v51, 0xbe11bafb, v22, -v45
	v_fmac_f32_e32 v45, 0xbe11bafb, v22
	v_add_f32_e32 v0, v0, v12
	v_add_f32_e32 v1, v1, v13
	v_fma_f32 v55, 0xbf27a4f4, v22, -v47
	v_mul_f32_e32 v25, 0xbe903f40, v25
	v_add_f32_e32 v27, v4, v2
	v_add_f32_e32 v0, v0, v14
	;; [unrolled: 1-line block ×3, first 2 shown]
	v_sub_f32_e32 v39, v2, v4
	v_fma_f32 v2, 0x3f575c64, v22, -v41
	v_fmac_f32_e32 v41, 0x3f575c64, v22
	v_add_f32_e32 v0, v0, v16
	v_add_f32_e32 v1, v1, v17
	v_fma_f32 v49, 0x3ed4b147, v22, -v43
	v_fmac_f32_e32 v43, 0x3ed4b147, v22
	v_fmamk_f32 v56, v23, 0xbf27a4f4, v48
	v_add_f32_e32 v0, v0, v18
	v_add_f32_e32 v1, v1, v19
	v_fmac_f32_e32 v47, 0xbf27a4f4, v22
	v_add_f32_e32 v38, v5, v3
	v_fmamk_f32 v3, v23, 0x3f575c64, v42
	v_add_f32_e32 v0, v0, v4
	v_add_f32_e32 v1, v1, v5
	;; [unrolled: 1-line block ×4, first 2 shown]
	v_mul_f32_e32 v55, 0xbf68dda4, v40
	v_add_f32_e32 v0, v0, v6
	v_add_f32_e32 v1, v1, v7
	v_fma_f32 v6, 0xbf27a4f4, v23, -v48
	v_fma_f32 v7, 0xbf75a155, v22, -v26
	v_fmamk_f32 v48, v23, 0xbf75a155, v25
	v_fmac_f32_e32 v26, 0xbf75a155, v22
	v_fma_f32 v42, 0x3f575c64, v23, -v42
	v_fmamk_f32 v50, v23, 0x3ed4b147, v44
	v_fma_f32 v44, 0x3ed4b147, v23, -v44
	v_fmamk_f32 v54, v23, 0xbe11bafb, v46
	v_fma_f32 v46, 0xbe11bafb, v23, -v46
	v_add_f32_e32 v2, v20, v2
	v_add_f32_e32 v41, v20, v41
	;; [unrolled: 1-line block ×7, first 2 shown]
	v_fma_f32 v22, 0xbf75a155, v23, -v25
	v_mul_f32_e32 v23, 0xbf68dda4, v39
	v_add_f32_e32 v25, v21, v48
	v_fma_f32 v48, 0x3ed4b147, v27, -v55
	v_add_f32_e32 v20, v20, v26
	v_mul_f32_e32 v26, 0xbf4178ce, v40
	v_add_f32_e32 v3, v21, v3
	v_add_f32_e32 v42, v21, v42
	;; [unrolled: 1-line block ×9, first 2 shown]
	v_fmamk_f32 v22, v38, 0x3ed4b147, v23
	v_add_f32_e32 v2, v48, v2
	v_fmac_f32_e32 v55, 0x3ed4b147, v27
	v_fma_f32 v23, 0x3ed4b147, v38, -v23
	v_mul_f32_e32 v48, 0xbf4178ce, v39
	v_fma_f32 v56, 0xbf27a4f4, v27, -v26
	v_add_f32_e32 v3, v22, v3
	v_add_f32_e32 v22, v55, v41
	;; [unrolled: 1-line block ×3, first 2 shown]
	v_fmamk_f32 v41, v38, 0xbf27a4f4, v48
	v_add_f32_e32 v42, v56, v49
	v_mul_f32_e32 v49, 0x3e903f40, v40
	v_fmac_f32_e32 v26, 0xbf27a4f4, v27
	v_mul_f32_e32 v55, 0x3e903f40, v39
	v_add_f32_e32 v41, v41, v50
	v_fma_f32 v48, 0xbf27a4f4, v38, -v48
	v_fma_f32 v50, 0xbf75a155, v27, -v49
	v_add_f32_e32 v26, v26, v43
	v_fmamk_f32 v43, v38, 0xbf75a155, v55
	v_fmac_f32_e32 v49, 0xbf75a155, v27
	v_add_f32_e32 v44, v48, v44
	v_add_f32_e32 v48, v50, v51
	v_fma_f32 v50, 0xbf75a155, v38, -v55
	v_mul_f32_e32 v55, 0x3f7d64f0, v39
	v_mul_f32_e32 v56, 0x3f7d64f0, v40
	v_add_f32_e32 v4, v49, v4
	v_mul_f32_e32 v40, 0x3f0a6770, v40
	v_add_f32_e32 v43, v43, v54
	v_fmamk_f32 v49, v38, 0xbe11bafb, v55
	v_sub_f32_e32 v54, v9, v19
	v_fma_f32 v51, 0xbe11bafb, v27, -v56
	v_mul_f32_e32 v39, 0x3f0a6770, v39
	v_add_f32_e32 v5, v50, v5
	v_add_f32_e32 v46, v49, v46
	v_fma_f32 v49, 0x3f575c64, v27, -v40
	v_add_f32_e32 v45, v51, v45
	v_fmac_f32_e32 v56, 0xbe11bafb, v27
	v_fma_f32 v50, 0xbe11bafb, v38, -v55
	v_fmamk_f32 v51, v38, 0x3f575c64, v39
	v_add_f32_e32 v7, v49, v7
	v_add_f32_e32 v49, v18, v8
	v_sub_f32_e32 v8, v8, v18
	v_mul_f32_e32 v18, 0xbf7d64f0, v54
	v_fmac_f32_e32 v40, 0x3f575c64, v27
	v_fma_f32 v27, 0x3f575c64, v38, -v39
	v_add_f32_e32 v9, v19, v9
	v_mul_f32_e32 v19, 0xbf7d64f0, v8
	v_fma_f32 v38, 0xbe11bafb, v49, -v18
	v_fmac_f32_e32 v18, 0xbe11bafb, v49
	v_add_f32_e32 v21, v27, v21
	v_mul_f32_e32 v39, 0x3e903f40, v8
	v_fmamk_f32 v27, v9, 0xbe11bafb, v19
	v_add_f32_e32 v2, v38, v2
	v_mul_f32_e32 v38, 0x3e903f40, v54
	v_fma_f32 v19, 0xbe11bafb, v9, -v19
	v_add_f32_e32 v20, v40, v20
	v_add_f32_e32 v3, v27, v3
	;; [unrolled: 1-line block ×3, first 2 shown]
	v_fma_f32 v27, 0xbf75a155, v49, -v38
	v_fmamk_f32 v22, v9, 0xbf75a155, v39
	v_add_f32_e32 v19, v19, v23
	v_mul_f32_e32 v23, 0x3f68dda4, v54
	v_fmac_f32_e32 v38, 0xbf75a155, v49
	v_fma_f32 v39, 0xbf75a155, v9, -v39
	v_mul_f32_e32 v40, 0x3f68dda4, v8
	v_add_f32_e32 v27, v27, v42
	v_fma_f32 v42, 0x3ed4b147, v49, -v23
	v_add_f32_e32 v26, v38, v26
	v_add_f32_e32 v38, v39, v44
	v_fmamk_f32 v39, v9, 0x3ed4b147, v40
	v_add_f32_e32 v22, v22, v41
	v_add_f32_e32 v41, v42, v48
	v_mul_f32_e32 v42, 0xbf0a6770, v54
	v_fmac_f32_e32 v23, 0x3ed4b147, v49
	v_fma_f32 v40, 0x3ed4b147, v9, -v40
	v_add_f32_e32 v39, v39, v43
	v_mul_f32_e32 v43, 0xbf0a6770, v8
	v_add_f32_e32 v6, v50, v6
	v_fma_f32 v44, 0x3f575c64, v49, -v42
	v_add_f32_e32 v4, v23, v4
	v_add_f32_e32 v5, v40, v5
	v_mul_f32_e32 v23, 0xbf4178ce, v54
	v_fmamk_f32 v40, v9, 0x3f575c64, v43
	v_fma_f32 v43, 0x3f575c64, v9, -v43
	v_add_f32_e32 v44, v44, v45
	v_mul_f32_e32 v8, 0xbf4178ce, v8
	v_fma_f32 v45, 0xbf27a4f4, v49, -v23
	v_add_f32_e32 v40, v40, v46
	v_add_f32_e32 v6, v43, v6
	v_sub_f32_e32 v43, v11, v17
	v_sub_f32_e32 v46, v10, v16
	v_add_f32_e32 v25, v51, v25
	v_add_f32_e32 v7, v45, v7
	v_fmamk_f32 v45, v9, 0xbf27a4f4, v8
	v_fmac_f32_e32 v23, 0xbf27a4f4, v49
	v_add_f32_e32 v10, v16, v10
	v_mul_f32_e32 v16, 0xbf4178ce, v43
	v_fma_f32 v8, 0xbf27a4f4, v9, -v8
	v_add_f32_e32 v9, v17, v11
	v_mul_f32_e32 v11, 0xbf4178ce, v46
	v_add_f32_e32 v17, v45, v25
	v_fma_f32 v25, 0xbf27a4f4, v10, -v16
	v_add_f32_e32 v20, v23, v20
	v_add_f32_e32 v8, v8, v21
	v_fmamk_f32 v21, v9, 0xbf27a4f4, v11
	v_mul_f32_e32 v23, 0x3f7d64f0, v43
	v_fmac_f32_e32 v16, 0xbf27a4f4, v10
	v_add_f32_e32 v2, v25, v2
	v_fma_f32 v11, 0xbf27a4f4, v9, -v11
	v_add_f32_e32 v3, v21, v3
	v_fma_f32 v21, 0xbe11bafb, v10, -v23
	v_mul_f32_e32 v25, 0x3f7d64f0, v46
	v_add_f32_e32 v16, v16, v18
	v_mul_f32_e32 v18, 0xbf0a6770, v43
	v_add_f32_e32 v11, v11, v19
	v_add_f32_e32 v19, v21, v27
	v_fmamk_f32 v21, v9, 0xbe11bafb, v25
	v_fmac_f32_e32 v23, 0xbe11bafb, v10
	v_fma_f32 v25, 0xbe11bafb, v9, -v25
	v_fma_f32 v27, 0x3f575c64, v10, -v18
	v_mul_f32_e32 v45, 0xbf0a6770, v46
	v_add_f32_e32 v47, v56, v47
	v_fmac_f32_e32 v42, 0x3f575c64, v49
	v_add_f32_e32 v21, v21, v22
	v_add_f32_e32 v22, v23, v26
	;; [unrolled: 1-line block ×4, first 2 shown]
	v_fmamk_f32 v26, v9, 0x3f575c64, v45
	v_mul_f32_e32 v27, 0xbe903f40, v43
	v_add_f32_e32 v42, v42, v47
	v_fmac_f32_e32 v18, 0x3f575c64, v10
	v_fma_f32 v38, 0x3f575c64, v9, -v45
	v_mul_f32_e32 v41, 0xbe903f40, v46
	v_add_f32_e32 v26, v26, v39
	v_fma_f32 v39, 0xbf75a155, v10, -v27
	v_fmac_f32_e32 v27, 0xbf75a155, v10
	v_add_f32_e32 v18, v18, v4
	v_add_f32_e32 v38, v38, v5
	v_fmamk_f32 v4, v9, 0xbf75a155, v41
	v_mul_f32_e32 v5, 0x3f68dda4, v43
	v_fma_f32 v41, 0xbf75a155, v9, -v41
	v_add_f32_e32 v27, v27, v42
	v_sub_f32_e32 v42, v13, v15
	v_add_f32_e32 v40, v4, v40
	v_fma_f32 v4, 0x3ed4b147, v10, -v5
	v_mul_f32_e32 v43, 0x3f68dda4, v46
	v_add_f32_e32 v41, v41, v6
	v_add_f32_e32 v45, v14, v12
	v_sub_f32_e32 v46, v12, v14
	v_mul_f32_e32 v6, 0xbe903f40, v42
	v_add_f32_e32 v39, v39, v44
	v_add_f32_e32 v44, v4, v7
	v_fmamk_f32 v4, v9, 0x3ed4b147, v43
	v_fmac_f32_e32 v5, 0x3ed4b147, v10
	v_fma_f32 v7, 0x3ed4b147, v9, -v43
	v_add_f32_e32 v43, v15, v13
	v_mul_f32_e32 v9, 0xbe903f40, v46
	v_fma_f32 v10, 0xbf75a155, v45, -v6
	v_add_f32_e32 v20, v5, v20
	v_mul_f32_e32 v12, 0xbf4178ce, v42
	v_add_f32_e32 v47, v4, v17
	v_fma_f32 v5, 0xbf75a155, v43, -v9
	v_add_f32_e32 v2, v10, v2
	v_mul_f32_e32 v10, 0x3f0a6770, v46
	v_add_f32_e32 v48, v7, v8
	v_fmamk_f32 v4, v43, 0xbf75a155, v9
	v_mul_f32_e32 v7, 0x3f0a6770, v42
	v_add_f32_e32 v9, v5, v11
	v_fmamk_f32 v5, v43, 0x3f575c64, v10
	v_fma_f32 v11, 0xbf27a4f4, v45, -v12
	v_fmac_f32_e32 v12, 0xbf27a4f4, v45
	v_fmac_f32_e32 v6, 0xbf75a155, v45
	v_add_f32_e32 v3, v4, v3
	v_fma_f32 v4, 0x3f575c64, v45, -v7
	v_fmac_f32_e32 v7, 0x3f575c64, v45
	v_add_f32_e32 v5, v5, v21
	v_add_f32_e32 v12, v12, v18
	v_mul_f32_e32 v21, 0xbf7d64f0, v42
	v_mul_f32_e32 v18, 0xbf7d64f0, v46
	v_fma_f32 v10, 0x3f575c64, v43, -v10
	v_mul_f32_e32 v13, 0xbf4178ce, v46
	v_add_f32_e32 v8, v6, v16
	v_mul_f32_e32 v16, 0x3f68dda4, v42
	v_mul_f32_e32 v17, 0x3f68dda4, v46
	v_add_f32_e32 v4, v4, v19
	v_add_f32_e32 v6, v7, v22
	v_fma_f32 v19, 0xbe11bafb, v45, -v21
	v_fmamk_f32 v22, v43, 0xbe11bafb, v18
	v_add_f32_e32 v7, v10, v23
	v_add_f32_e32 v10, v11, v25
	v_fmamk_f32 v11, v43, 0xbf27a4f4, v13
	v_fma_f32 v14, 0x3ed4b147, v45, -v16
	v_fmamk_f32 v15, v43, 0x3ed4b147, v17
	v_fmac_f32_e32 v16, 0x3ed4b147, v45
	v_fma_f32 v17, 0x3ed4b147, v43, -v17
	v_fmac_f32_e32 v21, 0xbe11bafb, v45
	v_fma_f32 v23, 0xbe11bafb, v43, -v18
	v_fma_f32 v13, 0xbf27a4f4, v43, -v13
	v_add_f32_e32 v18, v19, v44
	v_add_f32_e32 v19, v22, v47
	v_mad_u32_u24 v22, 0x50, v28, v29
	v_add_f32_e32 v11, v11, v26
	v_lshl_add_u32 v55, v36, 3, v53
	v_add_f32_e32 v14, v14, v39
	v_add_f32_e32 v15, v15, v40
	v_lshl_add_u32 v54, v35, 3, v53
	v_add_f32_e32 v16, v16, v27
	v_add_f32_e32 v17, v17, v41
	;; [unrolled: 1-line block ×4, first 2 shown]
	v_lshl_add_u32 v56, v37, 3, v53
	v_add_f32_e32 v13, v13, v38
	ds_write2_b64 v22, v[0:1], v[2:3] offset1:1
	ds_write2_b64 v22, v[4:5], v[10:11] offset0:2 offset1:3
	ds_write2_b64 v22, v[14:15], v[18:19] offset0:4 offset1:5
	;; [unrolled: 1-line block ×4, first 2 shown]
	ds_write_b64 v22, v[8:9] offset:80
	s_waitcnt lgkmcnt(0)
	s_barrier
	buffer_gl0_inv
	ds_read_b64 v[20:21], v52
	ds_read2_b64 v[4:7], v29 offset0:121 offset1:143
	ds_read2_b64 v[0:3], v29 offset0:165 offset1:187
	ds_read_b64 v[14:15], v55
	ds_read_b64 v[12:13], v54
	;; [unrolled: 1-line block ×4, first 2 shown]
	ds_read_b64 v[22:23], v29 offset:1672
	v_lshlrev_b32_e32 v25, 3, v32
                                        ; implicit-def: $vgpr11
	s_and_saveexec_b32 s1, s0
	s_cbranch_execz .LBB0_14
; %bb.13:
	v_add3_u32 v8, 0, v25, v24
	ds_read_b64 v[8:9], v8
	ds_read_b64 v[10:11], v29 offset:1848
.LBB0_14:
	s_or_b32 exec_lo, exec_lo, s1
	v_and_b32_e32 v26, 0xff, v33
	v_and_b32_e32 v27, 0xff, v37
	;; [unrolled: 1-line block ×4, first 2 shown]
	v_mul_lo_u16 v26, 0x75, v26
	v_mul_lo_u16 v27, 0x75, v27
	;; [unrolled: 1-line block ×4, first 2 shown]
	v_lshrrev_b16 v40, 8, v26
	v_lshrrev_b16 v41, 8, v27
	;; [unrolled: 1-line block ×4, first 2 shown]
	v_add_nc_u32_e32 v26, -11, v28
	v_sub_nc_u16 v27, v33, v40
	v_sub_nc_u16 v38, v37, v41
	;; [unrolled: 1-line block ×4, first 2 shown]
	v_mov_b32_e32 v39, 0
	v_lshrrev_b16 v27, 1, v27
	v_lshrrev_b16 v46, 1, v38
	v_cndmask_b32_e64 v38, v26, v28, s0
	v_lshrrev_b16 v44, 1, v44
	v_lshrrev_b16 v45, 1, v45
	v_and_b32_e32 v47, 0x7f, v27
	v_and_b32_e32 v46, 0x7f, v46
	v_lshlrev_b64 v[26:27], 3, v[38:39]
	v_and_b32_e32 v39, 0x7f, v44
	v_and_b32_e32 v44, 0x7f, v45
	v_add_nc_u16 v40, v47, v40
	v_add_nc_u16 v41, v46, v41
	v_lshlrev_b32_e32 v38, 3, v38
	v_add_co_u32 v26, s1, s8, v26
	v_add_co_ci_u32_e64 v27, s1, s9, v27, s1
	v_add_nc_u16 v42, v39, v42
	v_lshrrev_b16 v49, 3, v40
	v_add_nc_u16 v43, v44, v43
	v_lshrrev_b16 v50, 3, v41
	global_load_dwordx2 v[39:40], v[26:27], off
	v_lshrrev_b16 v27, 3, v42
	v_mul_lo_u16 v41, v49, 11
	v_lshrrev_b16 v51, 3, v43
	v_mul_lo_u16 v42, v50, 11
	v_mov_b32_e32 v26, 3
	v_mul_lo_u16 v43, v27, 11
	v_sub_nc_u16 v41, v33, v41
	v_mul_lo_u16 v44, v51, 11
	v_sub_nc_u16 v42, v37, v42
	v_cmp_lt_u32_e64 s1, 10, v28
	v_sub_nc_u16 v43, v36, v43
	v_lshlrev_b32_sdwa v58, v26, v41 dst_sel:DWORD dst_unused:UNUSED_PAD src0_sel:DWORD src1_sel:BYTE_0
	v_sub_nc_u16 v44, v35, v44
	v_lshlrev_b32_sdwa v59, v26, v42 dst_sel:DWORD dst_unused:UNUSED_PAD src0_sel:DWORD src1_sel:BYTE_0
	v_cndmask_b32_e64 v62, 0, 0xb0, s1
	v_lshlrev_b32_sdwa v60, v26, v43 dst_sel:DWORD dst_unused:UNUSED_PAD src0_sel:DWORD src1_sel:BYTE_0
	global_load_dwordx2 v[41:42], v58, s[8:9]
	v_lshlrev_b32_sdwa v61, v26, v44 dst_sel:DWORD dst_unused:UNUSED_PAD src0_sel:DWORD src1_sel:BYTE_0
	s_clause 0x2
	global_load_dwordx2 v[43:44], v59, s[8:9]
	global_load_dwordx2 v[45:46], v60, s[8:9]
	;; [unrolled: 1-line block ×3, first 2 shown]
	v_add_nc_u32_e32 v62, 0, v62
	v_and_b32_e32 v50, 0xffff, v50
	v_and_b32_e32 v49, 0xffff, v49
	;; [unrolled: 1-line block ×4, first 2 shown]
	v_add3_u32 v38, v62, v38, v24
	v_mad_u32_u24 v50, 0xb0, v50, 0
	v_mad_u32_u24 v49, 0xb0, v49, 0
	;; [unrolled: 1-line block ×4, first 2 shown]
	s_waitcnt vmcnt(0) lgkmcnt(0)
	s_barrier
	buffer_gl0_inv
	v_add3_u32 v27, v27, v60, v24
	v_mul_f32_e32 v62, v40, v5
	v_mul_f32_e32 v40, v40, v4
	v_fma_f32 v4, v39, v4, -v62
	v_fmac_f32_e32 v40, v39, v5
	v_add3_u32 v39, v49, v58, v24
	v_add3_u32 v49, v51, v61, v24
	v_sub_f32_e32 v4, v20, v4
	v_sub_f32_e32 v5, v21, v40
	v_add3_u32 v40, v50, v59, v24
	v_fma_f32 v20, v20, 2.0, -v4
	v_fma_f32 v21, v21, 2.0, -v5
	v_mul_f32_e32 v50, v42, v7
	v_mul_f32_e32 v42, v42, v6
	v_mul_f32_e32 v51, v44, v1
	v_mul_f32_e32 v44, v44, v0
	v_mul_f32_e32 v58, v46, v3
	v_mul_f32_e32 v46, v46, v2
	v_mul_f32_e32 v59, v48, v23
	v_mul_f32_e32 v48, v48, v22
	v_fma_f32 v6, v41, v6, -v50
	v_fmac_f32_e32 v42, v41, v7
	v_fma_f32 v7, v43, v0, -v51
	v_fmac_f32_e32 v44, v43, v1
	;; [unrolled: 2-line block ×4, first 2 shown]
	v_sub_f32_e32 v0, v18, v6
	v_sub_f32_e32 v1, v19, v42
	;; [unrolled: 1-line block ×8, first 2 shown]
	v_fma_f32 v18, v18, 2.0, -v0
	v_fma_f32 v19, v19, 2.0, -v1
	;; [unrolled: 1-line block ×8, first 2 shown]
	ds_write2_b64 v38, v[20:21], v[4:5] offset1:11
	ds_write2_b64 v39, v[18:19], v[0:1] offset1:11
	ds_write2_b64 v40, v[16:17], v[2:3] offset1:11
	ds_write2_b64 v27, v[14:15], v[6:7] offset1:11
	ds_write2_b64 v49, v[12:13], v[22:23] offset1:11
	s_and_saveexec_b32 s1, s0
	s_cbranch_execz .LBB0_16
; %bb.15:
	v_and_b32_e32 v0, 0xff, v32
	v_mul_lo_u16 v0, 0x75, v0
	v_lshrrev_b16 v0, 8, v0
	v_sub_nc_u16 v1, v32, v0
	v_lshrrev_b16 v1, 1, v1
	v_and_b32_e32 v1, 0x7f, v1
	v_add_nc_u16 v0, v1, v0
	v_lshrrev_b16 v0, 3, v0
	v_mul_lo_u16 v0, v0, 11
	v_sub_nc_u16 v0, v32, v0
	v_lshlrev_b32_sdwa v2, v26, v0 dst_sel:DWORD dst_unused:UNUSED_PAD src0_sel:DWORD src1_sel:BYTE_0
	global_load_dwordx2 v[0:1], v2, s[8:9]
	v_add3_u32 v4, 0, v2, v24
	s_waitcnt vmcnt(0)
	v_mul_f32_e32 v3, v10, v1
	v_mul_f32_e32 v1, v11, v1
	v_fmac_f32_e32 v3, v11, v0
	v_fma_f32 v0, v10, v0, -v1
	v_sub_f32_e32 v1, v9, v3
	v_sub_f32_e32 v0, v8, v0
	v_fma_f32 v3, v9, 2.0, -v1
	v_fma_f32 v2, v8, 2.0, -v0
	ds_write2_b64 v4, v[2:3], v[0:1] offset0:220 offset1:231
.LBB0_16:
	s_or_b32 exec_lo, exec_lo, s1
	v_mul_u32_u24_e32 v0, 10, v28
	s_waitcnt lgkmcnt(0)
	s_barrier
	buffer_gl0_inv
	v_add3_u32 v20, 0, v25, v24
	v_lshlrev_b32_e32 v16, 3, v0
	s_mov_b32 s4, exec_lo
	s_clause 0x4
	global_load_dwordx4 v[12:15], v16, s[8:9] offset:88
	global_load_dwordx4 v[8:11], v16, s[8:9] offset:104
	;; [unrolled: 1-line block ×5, first 2 shown]
	ds_read_b64 v[48:49], v57
	ds_read_b64 v[44:45], v56
	;; [unrolled: 1-line block ×4, first 2 shown]
	ds_read2_b32 v[42:43], v20 offset1:1
	ds_read2_b64 v[24:27], v29 offset0:132 offset1:154
	ds_read2_b64 v[20:23], v29 offset0:176 offset1:198
	ds_read_b64 v[40:41], v29 offset:1760
	ds_read_b64 v[38:39], v52
	s_waitcnt vmcnt(0) lgkmcnt(0)
	s_barrier
	buffer_gl0_inv
	v_mul_f32_e32 v58, v13, v49
	v_mul_f32_e32 v13, v13, v48
	;; [unrolled: 1-line block ×20, first 2 shown]
	v_fma_f32 v19, v12, v48, -v58
	v_fmac_f32_e32 v13, v12, v49
	v_fma_f32 v12, v14, v44, -v59
	v_fmac_f32_e32 v15, v14, v45
	;; [unrolled: 2-line block ×8, first 2 shown]
	v_fma_f32 v20, v22, v16, -v66
	v_fma_f32 v21, v40, v18, -v17
	v_fmac_f32_e32 v68, v41, v18
	v_fmac_f32_e32 v67, v23, v16
	v_add_f32_e32 v2, v19, v38
	v_add_f32_e32 v16, v13, v39
	;; [unrolled: 1-line block ×3, first 2 shown]
	v_sub_f32_e32 v18, v13, v68
	v_sub_f32_e32 v19, v19, v21
	v_add_f32_e32 v22, v12, v20
	v_sub_f32_e32 v24, v12, v20
	v_add_f32_e32 v2, v2, v12
	v_add_f32_e32 v12, v16, v15
	;; [unrolled: 1-line block ×3, first 2 shown]
	v_sub_f32_e32 v23, v15, v67
	v_sub_f32_e32 v26, v9, v3
	;; [unrolled: 1-line block ×3, first 2 shown]
	v_add_f32_e32 v41, v9, v3
	v_sub_f32_e32 v42, v11, v1
	v_sub_f32_e32 v44, v8, v6
	;; [unrolled: 1-line block ×4, first 2 shown]
	v_mul_f32_e32 v50, 0xbf0a6770, v18
	v_mul_f32_e32 v51, 0xbf0a6770, v19
	v_mul_f32_e32 v58, 0xbf68dda4, v18
	v_mul_f32_e32 v59, 0xbf68dda4, v19
	v_mul_f32_e32 v60, 0xbf7d64f0, v18
	v_mul_f32_e32 v61, 0xbf7d64f0, v19
	v_mul_f32_e32 v62, 0xbf4178ce, v18
	v_mul_f32_e32 v63, 0xbf4178ce, v19
	v_add_f32_e32 v2, v2, v14
	v_add_f32_e32 v9, v12, v9
	v_mul_f32_e32 v18, 0xbe903f40, v18
	v_mul_f32_e32 v19, 0xbe903f40, v19
	v_add_f32_e32 v25, v15, v67
	v_add_f32_e32 v27, v14, v0
	;; [unrolled: 1-line block ×6, first 2 shown]
	v_mul_f32_e32 v64, 0xbf68dda4, v23
	v_mul_f32_e32 v65, 0xbf4178ce, v23
	;; [unrolled: 1-line block ×40, first 2 shown]
	v_fma_f32 v96, 0x3f575c64, v17, -v50
	v_fmamk_f32 v97, v13, 0x3f575c64, v51
	v_fmac_f32_e32 v50, 0x3f575c64, v17
	v_fma_f32 v51, 0x3f575c64, v13, -v51
	v_fma_f32 v98, 0x3ed4b147, v17, -v58
	v_fmamk_f32 v99, v13, 0x3ed4b147, v59
	v_fmac_f32_e32 v58, 0x3ed4b147, v17
	v_fma_f32 v59, 0x3ed4b147, v13, -v59
	v_fma_f32 v100, 0xbe11bafb, v17, -v60
	v_fmamk_f32 v101, v13, 0xbe11bafb, v61
	v_fma_f32 v61, 0xbe11bafb, v13, -v61
	v_fma_f32 v102, 0xbf27a4f4, v17, -v62
	v_fmamk_f32 v103, v13, 0xbf27a4f4, v63
	v_add_f32_e32 v2, v2, v8
	v_add_f32_e32 v8, v9, v11
	v_fmac_f32_e32 v60, 0xbe11bafb, v17
	v_fmac_f32_e32 v62, 0xbf27a4f4, v17
	v_fma_f32 v104, 0xbf75a155, v17, -v18
	v_fmamk_f32 v105, v13, 0xbf75a155, v19
	v_fma_f32 v63, 0xbf27a4f4, v13, -v63
	v_fmac_f32_e32 v18, 0xbf75a155, v17
	v_fma_f32 v13, 0xbf75a155, v13, -v19
	v_fma_f32 v17, 0x3ed4b147, v22, -v64
	v_fmac_f32_e32 v64, 0x3ed4b147, v22
	v_fma_f32 v19, 0xbf27a4f4, v22, -v65
	v_fmac_f32_e32 v65, 0xbf27a4f4, v22
	v_fma_f32 v106, 0xbf75a155, v22, -v66
	v_fmac_f32_e32 v66, 0xbf75a155, v22
	v_fma_f32 v107, 0xbe11bafb, v22, -v69
	v_fmac_f32_e32 v69, 0xbe11bafb, v22
	v_fma_f32 v108, 0x3f575c64, v22, -v23
	v_fmac_f32_e32 v23, 0x3f575c64, v22
	v_fmamk_f32 v22, v25, 0x3ed4b147, v15
	v_fma_f32 v15, 0x3ed4b147, v25, -v15
	v_fmamk_f32 v109, v25, 0xbf27a4f4, v16
	v_fma_f32 v16, 0xbf27a4f4, v25, -v16
	v_fmamk_f32 v110, v25, 0xbf75a155, v70
	v_fma_f32 v70, 0xbf75a155, v25, -v70
	v_fmamk_f32 v111, v25, 0xbe11bafb, v71
	v_fma_f32 v71, 0xbe11bafb, v25, -v71
	v_fmamk_f32 v112, v25, 0x3f575c64, v24
	v_fma_f32 v24, 0x3f575c64, v25, -v24
	v_fma_f32 v25, 0xbe11bafb, v27, -v72
	v_fmac_f32_e32 v72, 0xbe11bafb, v27
	v_fma_f32 v113, 0xbf75a155, v27, -v73
	v_fmac_f32_e32 v73, 0xbf75a155, v27
	v_fma_f32 v114, 0x3ed4b147, v27, -v74
	v_fmac_f32_e32 v74, 0x3ed4b147, v27
	v_fma_f32 v115, 0x3f575c64, v27, -v75
	v_fmac_f32_e32 v75, 0x3f575c64, v27
	v_fma_f32 v116, 0xbf27a4f4, v27, -v26
	v_fmac_f32_e32 v26, 0xbf27a4f4, v27
	v_fmamk_f32 v12, v41, 0xbe11bafb, v76
	v_fma_f32 v14, 0xbe11bafb, v41, -v76
	v_fmamk_f32 v27, v41, 0xbf75a155, v77
	v_fma_f32 v76, 0xbf75a155, v41, -v77
	v_fmamk_f32 v77, v41, 0x3ed4b147, v78
	v_fma_f32 v78, 0x3ed4b147, v41, -v78
	v_fmamk_f32 v117, v41, 0x3f575c64, v79
	v_fma_f32 v79, 0x3f575c64, v41, -v79
	v_fmamk_f32 v118, v41, 0xbf27a4f4, v40
	v_fma_f32 v40, 0xbf27a4f4, v41, -v40
	v_fma_f32 v41, 0xbf27a4f4, v43, -v80
	v_fmac_f32_e32 v80, 0xbf27a4f4, v43
	v_fma_f32 v119, 0xbe11bafb, v43, -v81
	v_fmac_f32_e32 v81, 0xbe11bafb, v43
	v_fma_f32 v120, 0x3f575c64, v43, -v82
	v_fmac_f32_e32 v82, 0x3f575c64, v43
	v_fma_f32 v121, 0xbf75a155, v43, -v83
	v_fmac_f32_e32 v83, 0xbf75a155, v43
	v_fma_f32 v122, 0x3ed4b147, v43, -v42
	v_fmac_f32_e32 v42, 0x3ed4b147, v43
	v_fmamk_f32 v43, v45, 0xbf27a4f4, v84
	v_fma_f32 v84, 0xbf27a4f4, v45, -v84
	v_fmamk_f32 v123, v45, 0xbe11bafb, v85
	v_fma_f32 v85, 0xbe11bafb, v45, -v85
	v_fmamk_f32 v124, v45, 0x3f575c64, v86
	v_fma_f32 v86, 0x3f575c64, v45, -v86
	v_fmamk_f32 v125, v45, 0xbf75a155, v87
	v_fma_f32 v87, 0xbf75a155, v45, -v87
	v_fmamk_f32 v126, v45, 0x3ed4b147, v44
	v_fma_f32 v44, 0x3ed4b147, v45, -v44
	v_fma_f32 v45, 0xbf75a155, v47, -v88
	v_fmac_f32_e32 v88, 0xbf75a155, v47
	v_fma_f32 v127, 0x3f575c64, v47, -v89
	v_fmac_f32_e32 v89, 0x3f575c64, v47
	v_fma_f32 v128, 0xbf27a4f4, v47, -v90
	v_fmac_f32_e32 v90, 0xbf27a4f4, v47
	v_fma_f32 v129, 0x3ed4b147, v47, -v91
	v_fmac_f32_e32 v91, 0x3ed4b147, v47
	v_fma_f32 v130, 0xbe11bafb, v47, -v46
	v_fmac_f32_e32 v46, 0xbe11bafb, v47
	v_fmamk_f32 v47, v49, 0xbf75a155, v92
	v_fma_f32 v92, 0xbf75a155, v49, -v92
	v_fmamk_f32 v131, v49, 0x3f575c64, v93
	v_fma_f32 v93, 0x3f575c64, v49, -v93
	v_fmamk_f32 v132, v49, 0xbf27a4f4, v94
	v_fma_f32 v94, 0xbf27a4f4, v49, -v94
	v_fmamk_f32 v133, v49, 0x3ed4b147, v95
	v_fma_f32 v95, 0x3ed4b147, v49, -v95
	v_fmamk_f32 v134, v49, 0xbe11bafb, v48
	v_fma_f32 v48, 0xbe11bafb, v49, -v48
	v_add_f32_e32 v49, v96, v38
	v_add_f32_e32 v96, v97, v39
	;; [unrolled: 1-line block ×110, first 2 shown]
	ds_write2_b64 v29, v[4:5], v[8:9] offset0:44 offset1:66
	v_add_f32_e32 v4, v20, v21
	v_add_f32_e32 v5, v22, v68
	ds_write2_b64 v29, v[12:13], v[16:17] offset0:88 offset1:110
	ds_write2_b64 v29, v[18:19], v[14:15] offset0:132 offset1:154
	;; [unrolled: 1-line block ×3, first 2 shown]
	ds_write_b64 v29, v[2:3] offset:1760
	ds_write2_b64 v29, v[4:5], v[0:1] offset1:22
	s_waitcnt lgkmcnt(0)
	s_barrier
	buffer_gl0_inv
	ds_read_b64 v[2:3], v52
	v_sub_nc_u32_e32 v4, v53, v34
                                        ; implicit-def: $vgpr1
                                        ; implicit-def: $vgpr5
	v_cmpx_ne_u32_e32 0, v28
	s_xor_b32 s4, exec_lo, s4
	s_cbranch_execz .LBB0_18
; %bb.17:
	v_mov_b32_e32 v29, 0
	v_lshlrev_b64 v[0:1], 3, v[28:29]
	v_add_co_u32 v0, s1, s8, v0
	v_add_co_ci_u32_e64 v1, s1, s9, v1, s1
	global_load_dwordx2 v[6:7], v[0:1], off offset:1848
	ds_read_b64 v[0:1], v4 offset:1936
	s_waitcnt lgkmcnt(0)
	v_sub_f32_e32 v5, v2, v0
	v_add_f32_e32 v8, v1, v3
	v_sub_f32_e32 v1, v3, v1
	v_add_f32_e32 v0, v0, v2
	v_mul_f32_e32 v3, 0.5, v5
	v_mul_f32_e32 v2, 0.5, v8
	;; [unrolled: 1-line block ×3, first 2 shown]
	s_waitcnt vmcnt(0)
	v_mul_f32_e32 v5, v7, v3
	v_fma_f32 v8, v2, v7, v1
	v_fma_f32 v1, v2, v7, -v1
	v_fma_f32 v9, 0.5, v0, v5
	v_fma_f32 v0, v0, 0.5, -v5
	v_fma_f32 v5, -v6, v3, v8
	v_fma_f32 v1, -v6, v3, v1
	v_fmac_f32_e32 v9, v6, v2
	v_fma_f32 v0, -v6, v2, v0
                                        ; implicit-def: $vgpr2_vgpr3
	ds_write_b32 v52, v9
.LBB0_18:
	s_andn2_saveexec_b32 s1, s4
	s_cbranch_execz .LBB0_20
; %bb.19:
	ds_read_b32 v1, v53 offset:972
	v_mov_b32_e32 v5, 0
	s_waitcnt lgkmcnt(1)
	v_add_f32_e32 v6, v2, v3
	v_sub_f32_e32 v0, v2, v3
	s_waitcnt lgkmcnt(0)
	v_xor_b32_e32 v2, 0x80000000, v1
	v_mov_b32_e32 v1, v5
	ds_write_b32 v52, v6
	ds_write_b32 v53, v2 offset:972
.LBB0_20:
	s_or_b32 exec_lo, exec_lo, s1
	v_mov_b32_e32 v34, 0
	s_waitcnt lgkmcnt(0)
	v_lshlrev_b64 v[2:3], 3, v[33:34]
	v_mov_b32_e32 v38, v34
	v_lshlrev_b64 v[6:7], 3, v[37:38]
	v_add_co_u32 v2, s1, s8, v2
	v_add_co_ci_u32_e64 v3, s1, s9, v3, s1
	v_mov_b32_e32 v37, v34
	v_add_co_u32 v6, s1, s8, v6
	global_load_dwordx2 v[2:3], v[2:3], off offset:1848
	v_add_co_ci_u32_e64 v7, s1, s9, v7, s1
	v_lshlrev_b64 v[8:9], 3, v[36:37]
	v_mov_b32_e32 v36, v34
	global_load_dwordx2 v[6:7], v[6:7], off offset:1848
	v_add_co_u32 v8, s1, s8, v8
	v_add_co_ci_u32_e64 v9, s1, s9, v9, s1
	v_lshlrev_b64 v[10:11], 3, v[35:36]
	global_load_dwordx2 v[8:9], v[8:9], off offset:1848
	v_add_co_u32 v10, s1, s8, v10
	v_add_co_ci_u32_e64 v11, s1, s9, v11, s1
	global_load_dwordx2 v[10:11], v[10:11], off offset:1848
	ds_write_b32 v52, v5 offset:4
	ds_write_b64 v4, v[0:1] offset:1936
	ds_read_b64 v[0:1], v57
	ds_read_b64 v[12:13], v4 offset:1760
	s_waitcnt lgkmcnt(0)
	v_sub_f32_e32 v5, v0, v12
	v_add_f32_e32 v14, v1, v13
	v_sub_f32_e32 v1, v1, v13
	v_add_f32_e32 v12, v0, v12
	v_mul_f32_e32 v5, 0.5, v5
	v_mul_f32_e32 v13, 0.5, v14
	v_mul_f32_e32 v1, 0.5, v1
	s_waitcnt vmcnt(3)
	v_mul_f32_e32 v14, v3, v5
	v_fma_f32 v15, v13, v3, v1
	v_fma_f32 v3, v13, v3, -v1
	v_fma_f32 v0, 0.5, v12, v14
	v_fma_f32 v12, v12, 0.5, -v14
	v_fma_f32 v1, -v2, v5, v15
	v_fma_f32 v3, -v2, v5, v3
	v_fmac_f32_e32 v0, v2, v13
	v_fma_f32 v2, -v2, v13, v12
	ds_write_b64 v57, v[0:1]
	ds_write_b64 v4, v[2:3] offset:1760
	ds_read_b64 v[0:1], v56
	ds_read_b64 v[2:3], v4 offset:1584
	s_waitcnt lgkmcnt(0)
	v_sub_f32_e32 v5, v0, v2
	v_add_f32_e32 v12, v1, v3
	v_sub_f32_e32 v1, v1, v3
	v_add_f32_e32 v2, v0, v2
	v_mul_f32_e32 v3, 0.5, v5
	v_mul_f32_e32 v5, 0.5, v12
	v_mul_f32_e32 v1, 0.5, v1
	s_waitcnt vmcnt(2)
	v_mul_f32_e32 v12, v7, v3
	v_fma_f32 v13, v5, v7, v1
	v_fma_f32 v7, v5, v7, -v1
	v_fma_f32 v0, 0.5, v2, v12
	v_fma_f32 v2, v2, 0.5, -v12
	v_fma_f32 v1, -v6, v3, v13
	v_fma_f32 v3, -v6, v3, v7
	v_fmac_f32_e32 v0, v6, v5
	v_fma_f32 v2, -v6, v5, v2
	ds_write_b64 v56, v[0:1]
	;; [unrolled: 22-line block ×4, first 2 shown]
	ds_write_b64 v4, v[2:3] offset:1232
	s_and_saveexec_b32 s1, s0
	s_cbranch_execz .LBB0_22
; %bb.21:
	v_mov_b32_e32 v33, v34
	v_lshl_add_u32 v7, v32, 3, v53
	v_lshlrev_b64 v[0:1], 3, v[32:33]
	v_add_co_u32 v0, s0, s8, v0
	v_add_co_ci_u32_e64 v1, s0, s9, v1, s0
	global_load_dwordx2 v[0:1], v[0:1], off offset:1848
	ds_read_b64 v[2:3], v7
	ds_read_b64 v[5:6], v4 offset:1056
	s_waitcnt lgkmcnt(0)
	v_sub_f32_e32 v8, v2, v5
	v_add_f32_e32 v9, v3, v6
	v_sub_f32_e32 v3, v3, v6
	v_add_f32_e32 v2, v2, v5
	v_mul_f32_e32 v6, 0.5, v8
	v_mul_f32_e32 v8, 0.5, v9
	;; [unrolled: 1-line block ×3, first 2 shown]
	s_waitcnt vmcnt(0)
	v_mul_f32_e32 v5, v1, v6
	v_fma_f32 v9, v8, v1, v3
	v_fma_f32 v3, v8, v1, -v3
	v_fma_f32 v1, 0.5, v2, v5
	v_fma_f32 v5, v2, 0.5, -v5
	v_fma_f32 v2, -v0, v6, v9
	v_fma_f32 v6, -v0, v6, v3
	v_fmac_f32_e32 v1, v0, v8
	v_fma_f32 v5, -v0, v8, v5
	ds_write_b64 v7, v[1:2]
	ds_write_b64 v4, v[5:6] offset:1056
.LBB0_22:
	s_or_b32 exec_lo, exec_lo, s1
	s_waitcnt lgkmcnt(0)
	s_barrier
	buffer_gl0_inv
	s_and_saveexec_b32 s0, vcc_lo
	s_cbranch_execz .LBB0_25
; %bb.23:
	ds_read2_b64 v[2:5], v52 offset1:22
	ds_read2_b64 v[6:9], v52 offset0:44 offset1:66
	ds_read2_b64 v[10:13], v52 offset0:88 offset1:110
	;; [unrolled: 1-line block ×4, first 2 shown]
	v_mov_b32_e32 v29, 0
	ds_read_b64 v[24:25], v52 offset:1760
	v_add_co_u32 v0, vcc_lo, s2, v30
	v_add_co_ci_u32_e32 v1, vcc_lo, s3, v31, vcc_lo
	v_lshlrev_b64 v[22:23], 3, v[28:29]
	v_add_co_u32 v22, vcc_lo, v0, v22
	v_add_co_ci_u32_e32 v23, vcc_lo, v1, v23, vcc_lo
	v_cmp_eq_u32_e32 vcc_lo, 21, v28
	s_waitcnt lgkmcnt(5)
	global_store_dwordx2 v[22:23], v[2:3], off
	global_store_dwordx2 v[22:23], v[4:5], off offset:176
	s_waitcnt lgkmcnt(4)
	global_store_dwordx2 v[22:23], v[6:7], off offset:352
	global_store_dwordx2 v[22:23], v[8:9], off offset:528
	s_waitcnt lgkmcnt(3)
	global_store_dwordx2 v[22:23], v[10:11], off offset:704
	;; [unrolled: 3-line block ×5, first 2 shown]
	s_and_b32 exec_lo, exec_lo, vcc_lo
	s_cbranch_execz .LBB0_25
; %bb.24:
	ds_read_b64 v[2:3], v52 offset:1768
	s_waitcnt lgkmcnt(0)
	global_store_dwordx2 v[0:1], v[2:3], off offset:1936
.LBB0_25:
	s_endpgm
	.section	.rodata,"a",@progbits
	.p2align	6, 0x0
	.amdhsa_kernel fft_rtc_fwd_len242_factors_11_2_11_wgs_110_tpt_22_sp_ip_CI_unitstride_sbrr_R2C_dirReg
		.amdhsa_group_segment_fixed_size 0
		.amdhsa_private_segment_fixed_size 0
		.amdhsa_kernarg_size 88
		.amdhsa_user_sgpr_count 6
		.amdhsa_user_sgpr_private_segment_buffer 1
		.amdhsa_user_sgpr_dispatch_ptr 0
		.amdhsa_user_sgpr_queue_ptr 0
		.amdhsa_user_sgpr_kernarg_segment_ptr 1
		.amdhsa_user_sgpr_dispatch_id 0
		.amdhsa_user_sgpr_flat_scratch_init 0
		.amdhsa_user_sgpr_private_segment_size 0
		.amdhsa_wavefront_size32 1
		.amdhsa_uses_dynamic_stack 0
		.amdhsa_system_sgpr_private_segment_wavefront_offset 0
		.amdhsa_system_sgpr_workgroup_id_x 1
		.amdhsa_system_sgpr_workgroup_id_y 0
		.amdhsa_system_sgpr_workgroup_id_z 0
		.amdhsa_system_sgpr_workgroup_info 0
		.amdhsa_system_vgpr_workitem_id 0
		.amdhsa_next_free_vgpr 135
		.amdhsa_next_free_sgpr 21
		.amdhsa_reserve_vcc 1
		.amdhsa_reserve_flat_scratch 0
		.amdhsa_float_round_mode_32 0
		.amdhsa_float_round_mode_16_64 0
		.amdhsa_float_denorm_mode_32 3
		.amdhsa_float_denorm_mode_16_64 3
		.amdhsa_dx10_clamp 1
		.amdhsa_ieee_mode 1
		.amdhsa_fp16_overflow 0
		.amdhsa_workgroup_processor_mode 1
		.amdhsa_memory_ordered 1
		.amdhsa_forward_progress 0
		.amdhsa_shared_vgpr_count 0
		.amdhsa_exception_fp_ieee_invalid_op 0
		.amdhsa_exception_fp_denorm_src 0
		.amdhsa_exception_fp_ieee_div_zero 0
		.amdhsa_exception_fp_ieee_overflow 0
		.amdhsa_exception_fp_ieee_underflow 0
		.amdhsa_exception_fp_ieee_inexact 0
		.amdhsa_exception_int_div_zero 0
	.end_amdhsa_kernel
	.text
.Lfunc_end0:
	.size	fft_rtc_fwd_len242_factors_11_2_11_wgs_110_tpt_22_sp_ip_CI_unitstride_sbrr_R2C_dirReg, .Lfunc_end0-fft_rtc_fwd_len242_factors_11_2_11_wgs_110_tpt_22_sp_ip_CI_unitstride_sbrr_R2C_dirReg
                                        ; -- End function
	.section	.AMDGPU.csdata,"",@progbits
; Kernel info:
; codeLenInByte = 8608
; NumSgprs: 23
; NumVgprs: 135
; ScratchSize: 0
; MemoryBound: 0
; FloatMode: 240
; IeeeMode: 1
; LDSByteSize: 0 bytes/workgroup (compile time only)
; SGPRBlocks: 2
; VGPRBlocks: 16
; NumSGPRsForWavesPerEU: 23
; NumVGPRsForWavesPerEU: 135
; Occupancy: 7
; WaveLimiterHint : 1
; COMPUTE_PGM_RSRC2:SCRATCH_EN: 0
; COMPUTE_PGM_RSRC2:USER_SGPR: 6
; COMPUTE_PGM_RSRC2:TRAP_HANDLER: 0
; COMPUTE_PGM_RSRC2:TGID_X_EN: 1
; COMPUTE_PGM_RSRC2:TGID_Y_EN: 0
; COMPUTE_PGM_RSRC2:TGID_Z_EN: 0
; COMPUTE_PGM_RSRC2:TIDIG_COMP_CNT: 0
	.text
	.p2alignl 6, 3214868480
	.fill 48, 4, 3214868480
	.type	__hip_cuid_2643c6eae2d2b6dd,@object ; @__hip_cuid_2643c6eae2d2b6dd
	.section	.bss,"aw",@nobits
	.globl	__hip_cuid_2643c6eae2d2b6dd
__hip_cuid_2643c6eae2d2b6dd:
	.byte	0                               ; 0x0
	.size	__hip_cuid_2643c6eae2d2b6dd, 1

	.ident	"AMD clang version 19.0.0git (https://github.com/RadeonOpenCompute/llvm-project roc-6.4.0 25133 c7fe45cf4b819c5991fe208aaa96edf142730f1d)"
	.section	".note.GNU-stack","",@progbits
	.addrsig
	.addrsig_sym __hip_cuid_2643c6eae2d2b6dd
	.amdgpu_metadata
---
amdhsa.kernels:
  - .args:
      - .actual_access:  read_only
        .address_space:  global
        .offset:         0
        .size:           8
        .value_kind:     global_buffer
      - .offset:         8
        .size:           8
        .value_kind:     by_value
      - .actual_access:  read_only
        .address_space:  global
        .offset:         16
        .size:           8
        .value_kind:     global_buffer
      - .actual_access:  read_only
        .address_space:  global
        .offset:         24
        .size:           8
        .value_kind:     global_buffer
      - .offset:         32
        .size:           8
        .value_kind:     by_value
      - .actual_access:  read_only
        .address_space:  global
        .offset:         40
        .size:           8
        .value_kind:     global_buffer
      - .actual_access:  read_only
        .address_space:  global
        .offset:         48
        .size:           8
        .value_kind:     global_buffer
      - .offset:         56
        .size:           4
        .value_kind:     by_value
      - .actual_access:  read_only
        .address_space:  global
        .offset:         64
        .size:           8
        .value_kind:     global_buffer
      - .actual_access:  read_only
        .address_space:  global
        .offset:         72
        .size:           8
        .value_kind:     global_buffer
      - .address_space:  global
        .offset:         80
        .size:           8
        .value_kind:     global_buffer
    .group_segment_fixed_size: 0
    .kernarg_segment_align: 8
    .kernarg_segment_size: 88
    .language:       OpenCL C
    .language_version:
      - 2
      - 0
    .max_flat_workgroup_size: 110
    .name:           fft_rtc_fwd_len242_factors_11_2_11_wgs_110_tpt_22_sp_ip_CI_unitstride_sbrr_R2C_dirReg
    .private_segment_fixed_size: 0
    .sgpr_count:     23
    .sgpr_spill_count: 0
    .symbol:         fft_rtc_fwd_len242_factors_11_2_11_wgs_110_tpt_22_sp_ip_CI_unitstride_sbrr_R2C_dirReg.kd
    .uniform_work_group_size: 1
    .uses_dynamic_stack: false
    .vgpr_count:     135
    .vgpr_spill_count: 0
    .wavefront_size: 32
    .workgroup_processor_mode: 1
amdhsa.target:   amdgcn-amd-amdhsa--gfx1030
amdhsa.version:
  - 1
  - 2
...

	.end_amdgpu_metadata
